;; amdgpu-corpus repo=ROCm/rocFFT kind=compiled arch=gfx1201 opt=O3
	.text
	.amdgcn_target "amdgcn-amd-amdhsa--gfx1201"
	.amdhsa_code_object_version 6
	.protected	fft_rtc_fwd_len336_factors_6_7_8_wgs_336_tpt_56_sp_ip_CI_sbcc_twdbase8_3step_dirReg_intrinsicReadWrite ; -- Begin function fft_rtc_fwd_len336_factors_6_7_8_wgs_336_tpt_56_sp_ip_CI_sbcc_twdbase8_3step_dirReg_intrinsicReadWrite
	.globl	fft_rtc_fwd_len336_factors_6_7_8_wgs_336_tpt_56_sp_ip_CI_sbcc_twdbase8_3step_dirReg_intrinsicReadWrite
	.p2align	8
	.type	fft_rtc_fwd_len336_factors_6_7_8_wgs_336_tpt_56_sp_ip_CI_sbcc_twdbase8_3step_dirReg_intrinsicReadWrite,@function
fft_rtc_fwd_len336_factors_6_7_8_wgs_336_tpt_56_sp_ip_CI_sbcc_twdbase8_3step_dirReg_intrinsicReadWrite: ; @fft_rtc_fwd_len336_factors_6_7_8_wgs_336_tpt_56_sp_ip_CI_sbcc_twdbase8_3step_dirReg_intrinsicReadWrite
; %bb.0:
	s_load_b128 s[12:15], s[0:1], 0x18
	s_mov_b32 s21, 0
	s_mov_b32 s2, 0xaaa80000
	s_movk_i32 s3, 0xaa
	s_mov_b32 s20, s21
	s_mov_b64 s[26:27], 0
	s_add_nc_u64 s[2:3], s[20:21], s[2:3]
	s_delay_alu instid0(SALU_CYCLE_1) | instskip(NEXT) | instid1(SALU_CYCLE_1)
	s_add_co_i32 s3, s3, 0x2aaaaa00
	s_mul_u64 s[4:5], s[2:3], -6
	s_delay_alu instid0(SALU_CYCLE_1)
	s_mul_hi_u32 s7, s2, s5
	s_mul_i32 s6, s2, s5
	s_mul_hi_u32 s20, s2, s4
	s_mul_i32 s9, s3, s4
	s_add_nc_u64 s[6:7], s[20:21], s[6:7]
	s_mul_hi_u32 s8, s3, s4
	s_mul_hi_u32 s10, s3, s5
	s_mul_i32 s4, s3, s5
	s_wait_kmcnt 0x0
	s_load_b64 s[18:19], s[12:13], 0x8
	s_add_co_u32 s5, s6, s9
	s_add_co_ci_u32 s20, s7, s8
	s_add_co_ci_u32 s5, s10, 0
	s_delay_alu instid0(SALU_CYCLE_1) | instskip(NEXT) | instid1(SALU_CYCLE_1)
	s_add_nc_u64 s[4:5], s[20:21], s[4:5]
	v_add_co_u32 v1, s2, s2, s4
	s_delay_alu instid0(VALU_DEP_1) | instskip(SKIP_1) | instid1(VALU_DEP_1)
	s_cmp_lg_u32 s2, 0
	s_add_co_ci_u32 s6, s3, s5
	v_readfirstlane_b32 s7, v1
	s_wait_kmcnt 0x0
	s_add_nc_u64 s[2:3], s[18:19], -1
	s_wait_alu 0xfffe
	s_mul_hi_u32 s5, s2, s6
	s_mul_i32 s4, s2, s6
	s_mul_hi_u32 s20, s2, s7
	s_mul_hi_u32 s9, s3, s7
	s_mul_i32 s7, s3, s7
	s_wait_alu 0xfffe
	s_add_nc_u64 s[4:5], s[20:21], s[4:5]
	s_mul_hi_u32 s8, s3, s6
	s_wait_alu 0xfffe
	s_add_co_u32 s4, s4, s7
	s_add_co_ci_u32 s20, s5, s9
	s_mul_i32 s6, s3, s6
	s_add_co_ci_u32 s7, s8, 0
	s_delay_alu instid0(SALU_CYCLE_1) | instskip(SKIP_3) | instid1(SALU_CYCLE_1)
	s_add_nc_u64 s[4:5], s[20:21], s[6:7]
	s_mov_b32 s20, ttmp9
	s_wait_alu 0xfffe
	s_mul_u64 s[6:7], s[4:5], 6
	v_sub_co_u32 v1, s2, s2, s6
	s_delay_alu instid0(VALU_DEP_1) | instskip(SKIP_1) | instid1(VALU_DEP_1)
	s_cmp_lg_u32 s2, 0
	s_sub_co_ci_u32 s8, s3, s7
	v_sub_co_u32 v2, s6, v1, 6
	s_delay_alu instid0(VALU_DEP_1) | instskip(SKIP_2) | instid1(VALU_DEP_2)
	s_cmp_lg_u32 s6, 0
	v_readfirstlane_b32 s10, v1
	s_sub_co_ci_u32 s6, s8, 0
	v_readfirstlane_b32 s2, v2
	s_delay_alu instid0(VALU_DEP_1)
	s_cmp_gt_u32 s2, 5
	s_add_nc_u64 s[2:3], s[4:5], 1
	s_cselect_b32 s9, -1, 0
	s_wait_alu 0xfffe
	s_cmp_eq_u32 s6, 0
	s_add_nc_u64 s[6:7], s[4:5], 2
	s_cselect_b32 s9, s9, -1
	s_delay_alu instid0(SALU_CYCLE_1)
	s_cmp_lg_u32 s9, 0
	s_wait_alu 0xfffe
	s_cselect_b32 s2, s6, s2
	s_cselect_b32 s3, s7, s3
	s_cmp_gt_u32 s10, 5
	s_cselect_b32 s6, -1, 0
	s_cmp_eq_u32 s8, 0
	s_wait_alu 0xfffe
	s_cselect_b32 s6, s6, -1
	s_wait_alu 0xfffe
	s_cmp_lg_u32 s6, 0
	s_cselect_b32 s3, s3, s5
	s_cselect_b32 s2, s2, s4
	s_wait_alu 0xfffe
	s_add_nc_u64 s[22:23], s[2:3], 1
	s_delay_alu instid0(SALU_CYCLE_1) | instskip(NEXT) | instid1(VALU_DEP_1)
	v_cmp_lt_u64_e64 s2, s[20:21], s[22:23]
	s_and_b32 vcc_lo, exec_lo, s2
	s_cbranch_vccnz .LBB0_2
; %bb.1:
	v_cvt_f32_u32_e32 v1, s22
	s_sub_co_i32 s3, 0, s22
	s_mov_b32 s27, s21
	s_delay_alu instid0(VALU_DEP_1) | instskip(NEXT) | instid1(TRANS32_DEP_1)
	v_rcp_iflag_f32_e32 v1, v1
	v_mul_f32_e32 v1, 0x4f7ffffe, v1
	s_delay_alu instid0(VALU_DEP_1) | instskip(NEXT) | instid1(VALU_DEP_1)
	v_cvt_u32_f32_e32 v1, v1
	v_readfirstlane_b32 s2, v1
	s_wait_alu 0xfffe
	s_delay_alu instid0(VALU_DEP_1)
	s_mul_i32 s3, s3, s2
	s_wait_alu 0xfffe
	s_mul_hi_u32 s3, s2, s3
	s_wait_alu 0xfffe
	s_add_co_i32 s2, s2, s3
	s_wait_alu 0xfffe
	s_mul_hi_u32 s2, s20, s2
	s_wait_alu 0xfffe
	s_mul_i32 s3, s2, s22
	s_add_co_i32 s4, s2, 1
	s_wait_alu 0xfffe
	s_sub_co_i32 s3, s20, s3
	s_wait_alu 0xfffe
	s_sub_co_i32 s5, s3, s22
	s_cmp_ge_u32 s3, s22
	s_cselect_b32 s2, s4, s2
	s_wait_alu 0xfffe
	s_cselect_b32 s3, s5, s3
	s_add_co_i32 s4, s2, 1
	s_wait_alu 0xfffe
	s_cmp_ge_u32 s3, s22
	s_cselect_b32 s26, s4, s2
.LBB0_2:
	s_load_b128 s[8:11], s[0:1], 0x8
	s_load_b128 s[4:7], s[14:15], 0x0
	s_clause 0x1
	s_load_b64 s[16:17], s[0:1], 0x0
	s_load_b64 s[2:3], s[0:1], 0x58
	s_mul_u64 s[0:1], s[26:27], s[22:23]
	s_delay_alu instid0(SALU_CYCLE_1) | instskip(NEXT) | instid1(SALU_CYCLE_1)
	s_sub_nc_u64 s[0:1], s[20:21], s[0:1]
	s_mul_u64 s[24:25], s[0:1], 6
	s_wait_kmcnt 0x0
	v_cmp_lt_u64_e64 s5, s[10:11], 3
	s_mul_u64 s[0:1], s[6:7], s[24:25]
	s_delay_alu instid0(VALU_DEP_1)
	s_and_b32 vcc_lo, exec_lo, s5
	s_cbranch_vccnz .LBB0_12
; %bb.3:
	s_add_nc_u64 s[28:29], s[14:15], 16
	s_add_nc_u64 s[12:13], s[12:13], 16
	s_mov_b64 s[30:31], 2
	s_mov_b32 s34, 0
.LBB0_4:                                ; =>This Inner Loop Header: Depth=1
	s_load_b64 s[36:37], s[12:13], 0x0
                                        ; implicit-def: $sgpr40_sgpr41
	s_wait_kmcnt 0x0
	s_or_b64 s[38:39], s[26:27], s[36:37]
	s_delay_alu instid0(SALU_CYCLE_1)
	s_mov_b32 s35, s39
	s_mov_b32 s39, -1
	s_cmp_lg_u64 s[34:35], 0
	s_cbranch_scc0 .LBB0_6
; %bb.5:                                ;   in Loop: Header=BB0_4 Depth=1
	s_cvt_f32_u32 s5, s36
	s_cvt_f32_u32 s33, s37
	s_sub_nc_u64 s[42:43], 0, s[36:37]
	s_mov_b32 s39, 0
	s_mov_b32 s47, s34
	s_wait_alu 0xfffe
	s_fmamk_f32 s5, s33, 0x4f800000, s5
	s_wait_alu 0xfffe
	s_delay_alu instid0(SALU_CYCLE_2) | instskip(NEXT) | instid1(TRANS32_DEP_1)
	v_s_rcp_f32 s5, s5
	s_mul_f32 s5, s5, 0x5f7ffffc
	s_wait_alu 0xfffe
	s_delay_alu instid0(SALU_CYCLE_2) | instskip(NEXT) | instid1(SALU_CYCLE_3)
	s_mul_f32 s33, s5, 0x2f800000
	s_trunc_f32 s33, s33
	s_delay_alu instid0(SALU_CYCLE_3) | instskip(SKIP_2) | instid1(SALU_CYCLE_1)
	s_fmamk_f32 s5, s33, 0xcf800000, s5
	s_cvt_u32_f32 s41, s33
	s_wait_alu 0xfffe
	s_cvt_u32_f32 s40, s5
	s_wait_alu 0xfffe
	s_delay_alu instid0(SALU_CYCLE_2)
	s_mul_u64 s[44:45], s[42:43], s[40:41]
	s_wait_alu 0xfffe
	s_mul_hi_u32 s49, s40, s45
	s_mul_i32 s48, s40, s45
	s_mul_hi_u32 s38, s40, s44
	s_mul_i32 s33, s41, s44
	s_add_nc_u64 s[48:49], s[38:39], s[48:49]
	s_mul_hi_u32 s5, s41, s44
	s_mul_hi_u32 s35, s41, s45
	s_add_co_u32 s33, s48, s33
	s_wait_alu 0xfffe
	s_add_co_ci_u32 s46, s49, s5
	s_mul_i32 s44, s41, s45
	s_add_co_ci_u32 s45, s35, 0
	s_wait_alu 0xfffe
	s_add_nc_u64 s[44:45], s[46:47], s[44:45]
	s_wait_alu 0xfffe
	v_add_co_u32 v1, s5, s40, s44
	s_delay_alu instid0(VALU_DEP_1) | instskip(SKIP_1) | instid1(VALU_DEP_1)
	s_cmp_lg_u32 s5, 0
	s_add_co_ci_u32 s41, s41, s45
	v_readfirstlane_b32 s40, v1
	s_mov_b32 s45, s34
	s_wait_alu 0xfffe
	s_delay_alu instid0(VALU_DEP_1)
	s_mul_u64 s[42:43], s[42:43], s[40:41]
	s_wait_alu 0xfffe
	s_mul_hi_u32 s47, s40, s43
	s_mul_i32 s46, s40, s43
	s_mul_hi_u32 s38, s40, s42
	s_mul_i32 s33, s41, s42
	s_add_nc_u64 s[46:47], s[38:39], s[46:47]
	s_mul_hi_u32 s5, s41, s42
	s_mul_hi_u32 s35, s41, s43
	s_add_co_u32 s33, s46, s33
	s_wait_alu 0xfffe
	s_add_co_ci_u32 s44, s47, s5
	s_mul_i32 s42, s41, s43
	s_add_co_ci_u32 s43, s35, 0
	s_wait_alu 0xfffe
	s_add_nc_u64 s[42:43], s[44:45], s[42:43]
	s_wait_alu 0xfffe
	v_add_co_u32 v1, s5, v1, s42
	s_delay_alu instid0(VALU_DEP_1) | instskip(SKIP_1) | instid1(VALU_DEP_1)
	s_cmp_lg_u32 s5, 0
	s_add_co_ci_u32 s5, s41, s43
	v_readfirstlane_b32 s33, v1
	s_wait_alu 0xfffe
	s_mul_hi_u32 s41, s26, s5
	s_mul_i32 s40, s26, s5
	s_mul_hi_u32 s35, s27, s5
	s_mul_i32 s42, s27, s5
	s_mul_hi_u32 s38, s26, s33
	s_mul_i32 s5, s27, s33
	s_wait_alu 0xfffe
	s_add_nc_u64 s[40:41], s[38:39], s[40:41]
	s_mul_hi_u32 s33, s27, s33
	s_wait_alu 0xfffe
	s_add_co_u32 s5, s40, s5
	s_add_co_ci_u32 s44, s41, s33
	s_add_co_ci_u32 s43, s35, 0
	s_wait_alu 0xfffe
	s_add_nc_u64 s[40:41], s[44:45], s[42:43]
	s_wait_alu 0xfffe
	s_mul_u64 s[42:43], s[36:37], s[40:41]
	s_add_nc_u64 s[44:45], s[40:41], 1
	s_wait_alu 0xfffe
	v_sub_co_u32 v1, s5, s26, s42
	s_sub_co_i32 s33, s27, s43
	s_cmp_lg_u32 s5, 0
	s_add_nc_u64 s[46:47], s[40:41], 2
	s_delay_alu instid0(VALU_DEP_1) | instskip(SKIP_2) | instid1(VALU_DEP_1)
	v_sub_co_u32 v2, s35, v1, s36
	s_sub_co_ci_u32 s33, s33, s37
	s_cmp_lg_u32 s35, 0
	v_readfirstlane_b32 s35, v2
	s_sub_co_ci_u32 s33, s33, 0
	s_delay_alu instid0(SALU_CYCLE_1) | instskip(SKIP_1) | instid1(VALU_DEP_1)
	s_cmp_ge_u32 s33, s37
	s_cselect_b32 s38, -1, 0
	s_cmp_ge_u32 s35, s36
	s_cselect_b32 s35, -1, 0
	s_cmp_eq_u32 s33, s37
	s_cselect_b32 s33, s35, s38
	s_delay_alu instid0(SALU_CYCLE_1)
	s_cmp_lg_u32 s33, 0
	s_cselect_b32 s33, s46, s44
	s_cselect_b32 s35, s47, s45
	s_cmp_lg_u32 s5, 0
	v_readfirstlane_b32 s5, v1
	s_sub_co_ci_u32 s38, s27, s43
	s_delay_alu instid0(SALU_CYCLE_1) | instskip(SKIP_1) | instid1(VALU_DEP_1)
	s_cmp_ge_u32 s38, s37
	s_cselect_b32 s42, -1, 0
	s_cmp_ge_u32 s5, s36
	s_cselect_b32 s5, -1, 0
	s_cmp_eq_u32 s38, s37
	s_wait_alu 0xfffe
	s_cselect_b32 s5, s5, s42
	s_wait_alu 0xfffe
	s_cmp_lg_u32 s5, 0
	s_cselect_b32 s41, s35, s41
	s_cselect_b32 s40, s33, s40
.LBB0_6:                                ;   in Loop: Header=BB0_4 Depth=1
	s_and_not1_b32 vcc_lo, exec_lo, s39
	s_cbranch_vccnz .LBB0_8
; %bb.7:                                ;   in Loop: Header=BB0_4 Depth=1
	v_cvt_f32_u32_e32 v1, s36
	s_sub_co_i32 s33, 0, s36
	s_mov_b32 s41, s34
	s_delay_alu instid0(VALU_DEP_1) | instskip(NEXT) | instid1(TRANS32_DEP_1)
	v_rcp_iflag_f32_e32 v1, v1
	v_mul_f32_e32 v1, 0x4f7ffffe, v1
	s_delay_alu instid0(VALU_DEP_1) | instskip(NEXT) | instid1(VALU_DEP_1)
	v_cvt_u32_f32_e32 v1, v1
	v_readfirstlane_b32 s5, v1
	s_delay_alu instid0(VALU_DEP_1) | instskip(NEXT) | instid1(SALU_CYCLE_1)
	s_mul_i32 s33, s33, s5
	s_mul_hi_u32 s33, s5, s33
	s_delay_alu instid0(SALU_CYCLE_1)
	s_add_co_i32 s5, s5, s33
	s_wait_alu 0xfffe
	s_mul_hi_u32 s5, s26, s5
	s_wait_alu 0xfffe
	s_mul_i32 s33, s5, s36
	s_add_co_i32 s35, s5, 1
	s_sub_co_i32 s33, s26, s33
	s_delay_alu instid0(SALU_CYCLE_1)
	s_sub_co_i32 s38, s33, s36
	s_cmp_ge_u32 s33, s36
	s_cselect_b32 s5, s35, s5
	s_cselect_b32 s33, s38, s33
	s_wait_alu 0xfffe
	s_add_co_i32 s35, s5, 1
	s_cmp_ge_u32 s33, s36
	s_cselect_b32 s40, s35, s5
.LBB0_8:                                ;   in Loop: Header=BB0_4 Depth=1
	s_load_b64 s[38:39], s[28:29], 0x0
	s_add_nc_u64 s[30:31], s[30:31], 1
	s_mul_u64 s[22:23], s[36:37], s[22:23]
	s_wait_alu 0xfffe
	v_cmp_ge_u64_e64 s5, s[30:31], s[10:11]
	s_mul_u64 s[36:37], s[40:41], s[36:37]
	s_add_nc_u64 s[28:29], s[28:29], 8
	s_wait_alu 0xfffe
	s_sub_nc_u64 s[26:27], s[26:27], s[36:37]
	s_add_nc_u64 s[12:13], s[12:13], 8
	s_and_b32 vcc_lo, exec_lo, s5
	s_wait_kmcnt 0x0
	s_wait_alu 0xfffe
	s_mul_u64 s[26:27], s[38:39], s[26:27]
	s_wait_alu 0xfffe
	s_add_nc_u64 s[0:1], s[26:27], s[0:1]
	s_cbranch_vccnz .LBB0_10
; %bb.9:                                ;   in Loop: Header=BB0_4 Depth=1
	s_mov_b64 s[26:27], s[40:41]
	s_branch .LBB0_4
.LBB0_10:
	v_cmp_lt_u64_e64 s5, s[20:21], s[22:23]
	s_mov_b64 s[26:27], 0
	s_delay_alu instid0(VALU_DEP_1)
	s_and_b32 vcc_lo, exec_lo, s5
	s_cbranch_vccnz .LBB0_12
; %bb.11:
	v_cvt_f32_u32_e32 v1, s22
	s_sub_co_i32 s12, 0, s22
	s_mov_b32 s27, 0
	s_delay_alu instid0(VALU_DEP_1) | instskip(NEXT) | instid1(TRANS32_DEP_1)
	v_rcp_iflag_f32_e32 v1, v1
	v_mul_f32_e32 v1, 0x4f7ffffe, v1
	s_delay_alu instid0(VALU_DEP_1) | instskip(NEXT) | instid1(VALU_DEP_1)
	v_cvt_u32_f32_e32 v1, v1
	v_readfirstlane_b32 s5, v1
	s_delay_alu instid0(VALU_DEP_1) | instskip(NEXT) | instid1(SALU_CYCLE_1)
	s_mul_i32 s12, s12, s5
	s_mul_hi_u32 s12, s5, s12
	s_delay_alu instid0(SALU_CYCLE_1)
	s_add_co_i32 s5, s5, s12
	s_wait_alu 0xfffe
	s_mul_hi_u32 s5, s20, s5
	s_wait_alu 0xfffe
	s_mul_i32 s12, s5, s22
	s_add_co_i32 s13, s5, 1
	s_sub_co_i32 s12, s20, s12
	s_delay_alu instid0(SALU_CYCLE_1)
	s_sub_co_i32 s20, s12, s22
	s_cmp_ge_u32 s12, s22
	s_cselect_b32 s5, s13, s5
	s_wait_alu 0xfffe
	s_cselect_b32 s12, s20, s12
	s_add_co_i32 s13, s5, 1
	s_cmp_ge_u32 s12, s22
	s_cselect_b32 s26, s13, s5
.LBB0_12:
	v_mul_u32_u24_e32 v1, 0x2aab, v0
	s_lshl_b64 s[10:11], s[10:11], 3
	s_add_nc_u64 s[12:13], s[24:25], 6
	s_wait_alu 0xfffe
	s_add_nc_u64 s[10:11], s[14:15], s[10:11]
	v_mov_b32_e32 v4, 0
	v_lshrrev_b32_e32 v20, 16, v1
	s_load_b64 s[10:11], s[10:11], 0x0
	s_delay_alu instid0(VALU_DEP_1) | instskip(NEXT) | instid1(VALU_DEP_1)
	v_mul_lo_u16 v1, v20, 6
	v_sub_nc_u16 v1, v0, v1
	s_delay_alu instid0(VALU_DEP_1) | instskip(NEXT) | instid1(VALU_DEP_1)
	v_and_b32_e32 v14, 0xffff, v1
	v_mad_co_u64_u32 v[17:18], null, s6, v14, 0
	s_wait_kmcnt 0x0
	s_mul_u64 s[10:11], s[10:11], s[26:27]
	s_delay_alu instid0(VALU_DEP_1)
	v_mov_b32_e32 v1, v18
	v_add_co_u32 v18, s5, s24, v14
	s_wait_alu 0xf1ff
	v_add_co_ci_u32_e64 v19, null, s25, 0, s5
	v_cmp_le_u64_e64 s5, s[12:13], s[18:19]
	v_mad_co_u64_u32 v[1:2], null, s7, v14, v[1:2]
	s_delay_alu instid0(VALU_DEP_3) | instskip(SKIP_4) | instid1(SALU_CYCLE_1)
	v_cmp_gt_u64_e32 vcc_lo, s[18:19], v[18:19]
	v_dual_mov_b32 v2, 0 :: v_dual_mov_b32 v1, 0
	s_wait_alu 0xfffe
	s_add_nc_u64 s[6:7], s[10:11], s[0:1]
	s_or_b32 s1, s5, vcc_lo
	s_and_saveexec_b32 s7, s1
	s_cbranch_execz .LBB0_14
; %bb.13:
	v_mul_lo_u32 v1, s4, v20
	v_mov_b32_e32 v2, 0
	s_wait_alu 0xfffe
	s_delay_alu instid0(VALU_DEP_2) | instskip(NEXT) | instid1(VALU_DEP_1)
	v_add3_u32 v1, s6, v17, v1
	v_lshlrev_b64_e32 v[1:2], 3, v[1:2]
	s_delay_alu instid0(VALU_DEP_1) | instskip(NEXT) | instid1(VALU_DEP_1)
	v_add_co_u32 v1, s0, s2, v1
	v_add_co_ci_u32_e64 v2, s0, s3, v2, s0
	global_load_b64 v[1:2], v[1:2], off
.LBB0_14:
	s_wait_alu 0xfffe
	s_or_b32 exec_lo, exec_lo, s7
	v_mov_b32_e32 v3, 0
	s_and_saveexec_b32 s7, s1
	s_cbranch_execz .LBB0_16
; %bb.15:
	v_dual_mov_b32 v4, 0 :: v_dual_add_nc_u32 v3, 56, v20
	s_delay_alu instid0(VALU_DEP_1) | instskip(NEXT) | instid1(VALU_DEP_1)
	v_mul_lo_u32 v3, s4, v3
	v_add3_u32 v3, s6, v17, v3
	s_delay_alu instid0(VALU_DEP_1) | instskip(NEXT) | instid1(VALU_DEP_1)
	v_lshlrev_b64_e32 v[3:4], 3, v[3:4]
	v_add_co_u32 v3, s0, s2, v3
	s_wait_alu 0xf1ff
	s_delay_alu instid0(VALU_DEP_2)
	v_add_co_ci_u32_e64 v4, s0, s3, v4, s0
	global_load_b64 v[3:4], v[3:4], off
.LBB0_16:
	s_wait_alu 0xfffe
	s_or_b32 exec_lo, exec_lo, s7
	v_dual_mov_b32 v6, 0 :: v_dual_mov_b32 v7, 0
	v_mov_b32_e32 v8, 0
	s_and_saveexec_b32 s7, s1
	s_cbranch_execz .LBB0_18
; %bb.17:
	v_dual_mov_b32 v8, 0 :: v_dual_add_nc_u32 v5, 0x70, v20
	s_delay_alu instid0(VALU_DEP_1) | instskip(NEXT) | instid1(VALU_DEP_1)
	v_mul_lo_u32 v5, s4, v5
	v_add3_u32 v7, s6, v17, v5
	s_delay_alu instid0(VALU_DEP_1) | instskip(NEXT) | instid1(VALU_DEP_1)
	v_lshlrev_b64_e32 v[7:8], 3, v[7:8]
	v_add_co_u32 v7, s0, s2, v7
	s_wait_alu 0xf1ff
	s_delay_alu instid0(VALU_DEP_2)
	v_add_co_ci_u32_e64 v8, s0, s3, v8, s0
	global_load_b64 v[7:8], v[7:8], off
.LBB0_18:
	s_wait_alu 0xfffe
	s_or_b32 exec_lo, exec_lo, s7
	v_mov_b32_e32 v5, 0
	s_and_saveexec_b32 s7, s1
	s_cbranch_execz .LBB0_20
; %bb.19:
	v_dual_mov_b32 v6, 0 :: v_dual_add_nc_u32 v5, 0xa8, v20
	s_delay_alu instid0(VALU_DEP_1) | instskip(NEXT) | instid1(VALU_DEP_1)
	v_mul_lo_u32 v5, s4, v5
	v_add3_u32 v5, s6, v17, v5
	s_delay_alu instid0(VALU_DEP_1) | instskip(NEXT) | instid1(VALU_DEP_1)
	v_lshlrev_b64_e32 v[5:6], 3, v[5:6]
	v_add_co_u32 v5, s0, s2, v5
	s_wait_alu 0xf1ff
	s_delay_alu instid0(VALU_DEP_2)
	v_add_co_ci_u32_e64 v6, s0, s3, v6, s0
	global_load_b64 v[5:6], v[5:6], off
.LBB0_20:
	s_wait_alu 0xfffe
	s_or_b32 exec_lo, exec_lo, s7
	v_dual_mov_b32 v10, 0 :: v_dual_mov_b32 v11, 0
	v_mov_b32_e32 v12, 0
	s_and_saveexec_b32 s7, s1
	s_cbranch_execz .LBB0_22
; %bb.21:
	v_dual_mov_b32 v12, 0 :: v_dual_add_nc_u32 v9, 0xe0, v20
	s_delay_alu instid0(VALU_DEP_1) | instskip(NEXT) | instid1(VALU_DEP_1)
	v_mul_lo_u32 v9, s4, v9
	v_add3_u32 v11, s6, v17, v9
	s_delay_alu instid0(VALU_DEP_1) | instskip(NEXT) | instid1(VALU_DEP_1)
	v_lshlrev_b64_e32 v[11:12], 3, v[11:12]
	v_add_co_u32 v11, s0, s2, v11
	s_wait_alu 0xf1ff
	s_delay_alu instid0(VALU_DEP_2)
	v_add_co_ci_u32_e64 v12, s0, s3, v12, s0
	global_load_b64 v[11:12], v[11:12], off
.LBB0_22:
	s_wait_alu 0xfffe
	s_or_b32 exec_lo, exec_lo, s7
	v_mov_b32_e32 v9, 0
	s_and_saveexec_b32 s7, s1
	s_cbranch_execz .LBB0_24
; %bb.23:
	v_dual_mov_b32 v10, 0 :: v_dual_add_nc_u32 v9, 0x118, v20
	s_delay_alu instid0(VALU_DEP_1) | instskip(NEXT) | instid1(VALU_DEP_1)
	v_mul_lo_u32 v9, s4, v9
	v_add3_u32 v9, s6, v17, v9
	s_delay_alu instid0(VALU_DEP_1) | instskip(NEXT) | instid1(VALU_DEP_1)
	v_lshlrev_b64_e32 v[9:10], 3, v[9:10]
	v_add_co_u32 v9, s0, s2, v9
	s_wait_alu 0xf1ff
	s_delay_alu instid0(VALU_DEP_2)
	v_add_co_ci_u32_e64 v10, s0, s3, v10, s0
	global_load_b64 v[9:10], v[9:10], off
.LBB0_24:
	s_wait_alu 0xfffe
	s_or_b32 exec_lo, exec_lo, s7
	s_wait_loadcnt 0x0
	v_dual_add_f32 v13, v7, v11 :: v_dual_sub_f32 v16, v8, v12
	v_add_f32_e32 v15, v1, v7
	v_add_f32_e32 v19, v8, v12
	s_delay_alu instid0(VALU_DEP_3) | instskip(SKIP_1) | instid1(VALU_DEP_4)
	v_dual_add_f32 v8, v2, v8 :: v_dual_fmac_f32 v1, -0.5, v13
	v_sub_f32_e32 v7, v7, v11
	v_add_f32_e32 v11, v15, v11
	v_cmp_gt_u32_e64 s0, 0x120, v0
	s_delay_alu instid0(VALU_DEP_4)
	v_fmamk_f32 v13, v16, 0x3f5db3d7, v1
	v_fmac_f32_e32 v1, 0xbf5db3d7, v16
	v_add_f32_e32 v16, v8, v12
	v_dual_add_f32 v8, v6, v10 :: v_dual_add_f32 v15, v5, v9
	v_fmac_f32_e32 v2, -0.5, v19
	v_add_f32_e32 v12, v3, v5
	v_sub_f32_e32 v5, v5, v9
	s_delay_alu instid0(VALU_DEP_4)
	v_fmac_f32_e32 v3, -0.5, v15
	v_sub_f32_e32 v15, v6, v10
	v_add_f32_e32 v6, v4, v6
	v_fmac_f32_e32 v4, -0.5, v8
	v_fmamk_f32 v19, v7, 0xbf5db3d7, v2
	v_fmac_f32_e32 v2, 0x3f5db3d7, v7
	v_add_f32_e32 v12, v12, v9
	v_add_f32_e32 v22, v6, v10
	v_fmamk_f32 v8, v5, 0xbf5db3d7, v4
	v_dual_fmamk_f32 v7, v15, 0x3f5db3d7, v3 :: v_dual_fmac_f32 v4, 0x3f5db3d7, v5
	v_fmac_f32_e32 v3, 0xbf5db3d7, v15
	s_delay_alu instid0(VALU_DEP_2) | instskip(NEXT) | instid1(VALU_DEP_2)
	v_dual_add_f32 v5, v16, v22 :: v_dual_mul_f32 v24, -0.5, v4
	v_mul_f32_e32 v21, -0.5, v3
	s_delay_alu instid0(VALU_DEP_1) | instskip(SKIP_1) | instid1(VALU_DEP_4)
	v_fmac_f32_e32 v21, 0x3f5db3d7, v4
	v_dual_mul_f32 v15, 0.5, v7 :: v_dual_add_f32 v4, v11, v12
	v_fmac_f32_e32 v24, 0xbf5db3d7, v3
	v_mul_f32_e32 v23, 0xbf5db3d7, v7
	v_mad_u32_u24 v3, 0x120, v20, 0
	s_delay_alu instid0(VALU_DEP_4) | instskip(SKIP_3) | instid1(VALU_DEP_4)
	v_fmac_f32_e32 v15, 0x3f5db3d7, v8
	v_sub_f32_e32 v12, v11, v12
	v_add_f32_e32 v9, v2, v24
	v_sub_f32_e32 v2, v2, v24
	v_dual_fmac_f32 v23, 0.5, v8 :: v_dual_sub_f32 v10, v13, v15
	v_add_f32_e32 v6, v13, v15
	v_add_f32_e32 v8, v1, v21
	v_sub_f32_e32 v1, v1, v21
	s_delay_alu instid0(VALU_DEP_4)
	v_add_f32_e32 v7, v19, v23
	v_sub_f32_e32 v13, v16, v22
	v_lshl_add_u32 v15, v14, 3, v3
	v_sub_f32_e32 v11, v19, v23
	v_lshlrev_b32_e32 v19, 3, v14
	ds_store_2addr_b64 v15, v[4:5], v[6:7] offset1:6
	ds_store_2addr_b64 v15, v[8:9], v[12:13] offset0:12 offset1:18
	ds_store_2addr_b64 v15, v[10:11], v[1:2] offset0:24 offset1:30
	global_wb scope:SCOPE_SE
	s_wait_dscnt 0x0
	s_barrier_signal -1
	s_barrier_wait -1
	global_inv scope:SCOPE_SE
                                        ; implicit-def: $vgpr15
	s_and_saveexec_b32 s1, s0
	s_cbranch_execz .LBB0_26
; %bb.25:
	v_mul_i32_i24_e32 v1, 0xffffff10, v20
	s_delay_alu instid0(VALU_DEP_1)
	v_add3_u32 v3, v3, v1, v19
	ds_load_b64 v[4:5], v3
	ds_load_b64 v[6:7], v3 offset:2304
	ds_load_b64 v[8:9], v3 offset:4608
	;; [unrolled: 1-line block ×6, first 2 shown]
.LBB0_26:
	s_wait_alu 0xfffe
	s_or_b32 exec_lo, exec_lo, s1
	v_mul_lo_u16 v3, v20, 43
	s_delay_alu instid0(VALU_DEP_1) | instskip(NEXT) | instid1(VALU_DEP_1)
	v_lshrrev_b16 v21, 8, v3
	v_mul_lo_u16 v3, v21, 6
	s_delay_alu instid0(VALU_DEP_1) | instskip(NEXT) | instid1(VALU_DEP_1)
	v_sub_nc_u16 v3, v20, v3
	v_and_b32_e32 v22, 0xff, v3
	s_delay_alu instid0(VALU_DEP_1) | instskip(NEXT) | instid1(VALU_DEP_1)
	v_mul_u32_u24_e32 v3, 6, v22
	v_lshlrev_b32_e32 v3, 3, v3
	s_clause 0x2
	global_load_b128 v[23:26], v3, s[16:17]
	global_load_b128 v[27:30], v3, s[16:17] offset:16
	global_load_b128 v[31:34], v3, s[16:17] offset:32
	global_wb scope:SCOPE_SE
	s_wait_loadcnt_dscnt 0x0
	s_barrier_signal -1
	s_barrier_wait -1
	global_inv scope:SCOPE_SE
	v_mul_f32_e32 v16, v6, v24
	v_dual_mul_f32 v3, v7, v24 :: v_dual_mul_f32 v24, v9, v26
	v_dual_mul_f32 v37, v2, v32 :: v_dual_mul_f32 v26, v8, v26
	v_mul_f32_e32 v35, v13, v28
	s_delay_alu instid0(VALU_DEP_3)
	v_fma_f32 v3, v6, v23, -v3
	v_fmac_f32_e32 v16, v7, v23
	v_fma_f32 v6, v8, v25, -v24
	v_mul_f32_e32 v38, v15, v34
	v_fma_f32 v7, v12, v27, -v35
	v_mul_f32_e32 v34, v14, v34
	s_delay_alu instid0(VALU_DEP_1) | instskip(SKIP_4) | instid1(VALU_DEP_1)
	v_fmac_f32_e32 v34, v15, v33
	v_mul_f32_e32 v32, v1, v32
	v_fma_f32 v1, v1, v31, -v37
	v_mul_f32_e32 v36, v11, v30
	v_mul_f32_e32 v30, v10, v30
	v_fmac_f32_e32 v30, v11, v29
	s_delay_alu instid0(VALU_DEP_4)
	v_add_f32_e32 v11, v6, v1
	v_fmac_f32_e32 v26, v9, v25
	v_fma_f32 v8, v10, v29, -v36
	v_sub_f32_e32 v1, v6, v1
	v_fma_f32 v9, v14, v33, -v38
	v_mul_f32_e32 v28, v12, v28
	v_fmac_f32_e32 v32, v2, v31
	s_delay_alu instid0(VALU_DEP_3) | instskip(NEXT) | instid1(VALU_DEP_3)
	v_add_f32_e32 v2, v3, v9
	v_dual_sub_f32 v3, v3, v9 :: v_dual_fmac_f32 v28, v13, v27
	v_add_f32_e32 v13, v7, v8
	v_sub_f32_e32 v7, v8, v7
	s_delay_alu instid0(VALU_DEP_4) | instskip(SKIP_1) | instid1(VALU_DEP_4)
	v_sub_f32_e32 v23, v11, v2
	v_add_f32_e32 v15, v11, v2
	v_dual_sub_f32 v29, v1, v3 :: v_dual_sub_f32 v2, v2, v13
	s_delay_alu instid0(VALU_DEP_4)
	v_dual_sub_f32 v8, v30, v28 :: v_dual_add_f32 v25, v7, v1
	v_sub_f32_e32 v6, v26, v32
	v_dual_add_f32 v12, v26, v32 :: v_dual_sub_f32 v11, v13, v11
	v_sub_f32_e32 v9, v16, v34
	v_add_f32_e32 v13, v13, v15
	v_mul_f32_e32 v15, 0x3f4a47b2, v2
	v_add_f32_e32 v26, v8, v6
	v_dual_add_f32 v14, v28, v30 :: v_dual_sub_f32 v27, v7, v1
	v_sub_f32_e32 v28, v8, v6
	v_sub_f32_e32 v8, v9, v8
	;; [unrolled: 1-line block ×3, first 2 shown]
	v_dual_add_f32 v9, v26, v9 :: v_dual_add_f32 v10, v16, v34
	v_sub_f32_e32 v7, v3, v7
	v_mul_f32_e32 v26, 0xbf08b237, v27
	v_add_f32_e32 v3, v25, v3
	v_add_f32_e32 v1, v4, v13
	v_dual_add_f32 v16, v12, v10 :: v_dual_mul_f32 v27, 0xbf08b237, v28
	v_sub_f32_e32 v24, v12, v10
	s_delay_alu instid0(VALU_DEP_3) | instskip(SKIP_3) | instid1(VALU_DEP_4)
	v_dual_sub_f32 v12, v14, v12 :: v_dual_fmamk_f32 v13, v13, 0xbf955555, v1
	v_mul_f32_e32 v28, 0x3f5ff5aa, v29
	v_fmamk_f32 v4, v11, 0x3d64c772, v15
	v_fma_f32 v15, 0xbf3bfb3b, v23, -v15
	v_dual_mul_f32 v25, 0x3d64c772, v12 :: v_dual_sub_f32 v10, v10, v14
	v_add_f32_e32 v14, v14, v16
	v_mul_f32_e32 v16, 0x3d64c772, v11
	v_mul_f32_e32 v30, 0x3f5ff5aa, v6
	v_fma_f32 v6, 0x3f5ff5aa, v6, -v27
	v_mul_f32_e32 v10, 0x3f4a47b2, v10
	v_add_f32_e32 v2, v5, v14
	v_fma_f32 v11, 0x3f3bfb3b, v23, -v16
	v_fmamk_f32 v23, v7, 0x3eae86e6, v26
	v_fma_f32 v7, 0xbeae86e6, v7, -v28
	v_fmamk_f32 v5, v12, 0x3d64c772, v10
	v_fmamk_f32 v14, v14, 0xbf955555, v2
	v_fma_f32 v12, 0x3f3bfb3b, v24, -v25
	v_fma_f32 v10, 0xbf3bfb3b, v24, -v10
	v_dual_fmac_f32 v6, 0x3ee1c552, v9 :: v_dual_fmac_f32 v7, 0x3ee1c552, v3
	s_delay_alu instid0(VALU_DEP_4) | instskip(SKIP_3) | instid1(VALU_DEP_4)
	v_dual_fmamk_f32 v24, v8, 0x3eae86e6, v27 :: v_dual_add_f32 v27, v5, v14
	v_add_f32_e32 v5, v11, v13
	v_fma_f32 v8, 0xbeae86e6, v8, -v30
	v_add_f32_e32 v11, v15, v13
	v_dual_fmac_f32 v23, 0x3ee1c552, v3 :: v_dual_fmac_f32 v24, 0x3ee1c552, v9
	s_delay_alu instid0(VALU_DEP_4) | instskip(SKIP_4) | instid1(VALU_DEP_4)
	v_sub_f32_e32 v15, v5, v6
	v_fma_f32 v25, 0x3f5ff5aa, v29, -v26
	v_fmac_f32_e32 v8, 0x3ee1c552, v9
	v_add_f32_e32 v26, v4, v13
	v_add_f32_e32 v28, v10, v14
	v_dual_add_f32 v10, v12, v14 :: v_dual_fmac_f32 v25, 0x3ee1c552, v3
	s_delay_alu instid0(VALU_DEP_3) | instskip(SKIP_1) | instid1(VALU_DEP_4)
	v_dual_sub_f32 v4, v27, v23 :: v_dual_add_f32 v3, v24, v26
	v_add_f32_e32 v13, v8, v11
	v_dual_sub_f32 v11, v11, v8 :: v_dual_sub_f32 v14, v28, v7
	s_delay_alu instid0(VALU_DEP_4)
	v_dual_add_f32 v16, v25, v10 :: v_dual_add_f32 v9, v6, v5
	v_sub_f32_e32 v10, v10, v25
	v_add_f32_e32 v12, v7, v28
	v_dual_sub_f32 v5, v26, v24 :: v_dual_add_f32 v6, v23, v27
	s_and_saveexec_b32 s1, s0
	s_cbranch_execz .LBB0_28
; %bb.27:
	v_and_b32_e32 v7, 0xffff, v21
	s_delay_alu instid0(VALU_DEP_1) | instskip(NEXT) | instid1(VALU_DEP_1)
	v_mad_u32_u24 v7, v7, 42, v22
	v_mul_u32_u24_e32 v7, 48, v7
	s_delay_alu instid0(VALU_DEP_1)
	v_add3_u32 v7, 0, v7, v19
	ds_store_2addr_b64 v7, v[1:2], v[3:4] offset1:36
	ds_store_2addr_b64 v7, v[13:14], v[15:16] offset0:72 offset1:108
	ds_store_2addr_b64 v7, v[9:10], v[11:12] offset0:144 offset1:180
	ds_store_b64 v7, v[5:6] offset:1728
.LBB0_28:
	s_wait_alu 0xfffe
	s_or_b32 exec_lo, exec_lo, s1
	s_delay_alu instid0(SALU_CYCLE_1)
	s_mov_b32 s1, exec_lo
	global_wb scope:SCOPE_SE
	s_wait_dscnt 0x0
	s_barrier_signal -1
	s_barrier_wait -1
	global_inv scope:SCOPE_SE
	v_cmpx_gt_u32_e32 0xfc, v0
	s_cbranch_execz .LBB0_30
; %bb.29:
	v_mul_u32_u24_e32 v1, 48, v20
	s_delay_alu instid0(VALU_DEP_1) | instskip(NEXT) | instid1(VALU_DEP_1)
	v_add3_u32 v1, 0, v1, v19
	v_add_nc_u32_e32 v5, 0xfc0, v1
	v_add_nc_u32_e32 v6, 0x1f80, v1
	;; [unrolled: 1-line block ×3, first 2 shown]
	ds_load_2addr_b64 v[1:4], v1 offset1:252
	ds_load_2addr_b64 v[13:16], v5 offset1:252
	;; [unrolled: 1-line block ×4, first 2 shown]
.LBB0_30:
	s_wait_alu 0xfffe
	s_or_b32 exec_lo, exec_lo, s1
	v_cmp_gt_u32_e64 s1, 0xfc, v0
	v_cmp_lt_u32_e64 s0, 0xfb, v0
	v_cndmask_b32_e64 v21, 0, 1, vcc_lo
	s_wait_alu 0xf1ff
	s_delay_alu instid0(VALU_DEP_3) | instskip(NEXT) | instid1(VALU_DEP_3)
	v_cndmask_b32_e64 v19, 0, 1, s1
	s_or_b32 vcc_lo, s0, s5
	s_mov_b32 s0, exec_lo
	s_wait_alu 0xfffe
	s_delay_alu instid0(VALU_DEP_1) | instskip(NEXT) | instid1(VALU_DEP_1)
	v_cndmask_b32_e32 v19, v21, v19, vcc_lo
	v_and_b32_e32 v19, 1, v19
	s_delay_alu instid0(VALU_DEP_1)
	v_cmpx_eq_u32_e32 1, v19
	s_cbranch_execz .LBB0_32
; %bb.31:
	v_mul_lo_u16 v19, v20, 49
	v_and_b32_e32 v0, 0xffff, v0
	s_delay_alu instid0(VALU_DEP_2) | instskip(NEXT) | instid1(VALU_DEP_2)
	v_lshrrev_b16 v19, 11, v19
	v_mul_u32_u24_e32 v0, 0x209, v0
	s_delay_alu instid0(VALU_DEP_2) | instskip(NEXT) | instid1(VALU_DEP_2)
	v_mul_lo_u16 v19, v19, 42
	v_lshrrev_b32_e32 v0, 17, v0
	s_delay_alu instid0(VALU_DEP_2) | instskip(NEXT) | instid1(VALU_DEP_2)
	v_sub_nc_u16 v19, v20, v19
	v_mul_lo_u16 v0, 0x150, v0
	s_delay_alu instid0(VALU_DEP_2) | instskip(NEXT) | instid1(VALU_DEP_1)
	v_and_b32_e32 v81, 0xff, v19
	v_mul_u32_u24_e32 v19, 7, v81
	v_add_nc_u32_e32 v33, 0x54, v81
	v_mul_lo_u32 v71, v18, v81
	s_delay_alu instid0(VALU_DEP_3) | instskip(NEXT) | instid1(VALU_DEP_3)
	v_lshlrev_b32_e32 v31, 3, v19
	v_mul_lo_u32 v72, v18, v33
	s_clause 0x1
	global_load_b128 v[19:22], v31, s[16:17] offset:288
	global_load_b128 v[23:26], v31, s[16:17] offset:304
	v_add_nc_u32_e32 v27, 0x126, v81
	v_add_nc_u32_e32 v28, 0xfc, v81
	;; [unrolled: 1-line block ×5, first 2 shown]
	v_lshrrev_b32_e32 v45, 5, v72
	v_lshrrev_b32_e32 v53, 5, v71
	;; [unrolled: 1-line block ×3, first 2 shown]
	s_delay_alu instid0(VALU_DEP_3)
	v_and_b32_e32 v58, 0x7f8, v45
	s_wait_loadcnt_dscnt 0x102
	v_dual_mul_f32 v86, v14, v22 :: v_dual_mul_f32 v87, v3, v20
	v_add_nc_u32_e32 v30, 0xa8, v81
	v_mul_lo_u32 v66, v18, v28
	v_mul_f32_e32 v88, v13, v22
	v_mul_lo_u32 v65, v18, v27
	v_fmac_f32_e32 v87, v4, v19
	v_mul_lo_u32 v69, v18, v30
	v_fma_f32 v86, v13, v21, -v86
	s_wait_loadcnt 0x0
	v_mul_f32_e32 v90, v15, v24
	v_mul_lo_u32 v67, v18, v29
	v_mul_f32_e32 v13, v16, v24
	v_mul_lo_u32 v70, v18, v32
	s_clause 0x1
	global_load_b128 v[27:30], v31, s[16:17] offset:320
	global_load_b64 v[31:32], v31, s[16:17] offset:336
	s_wait_dscnt 0x1
	v_mul_f32_e32 v91, v9, v26
	v_mul_lo_u32 v18, v18, v34
	v_dual_fmac_f32 v88, v14, v21 :: v_dual_and_b32 v33, 0xff, v71
	v_and_b32_e32 v34, 0xff, v65
	v_lshrrev_b32_e32 v35, 5, v65
	v_dual_fmac_f32 v91, v10, v25 :: v_dual_and_b32 v36, 0xff, v66
	v_lshrrev_b32_e32 v37, 5, v66
	v_and_b32_e32 v38, 0xff, v67
	v_lshrrev_b32_e32 v39, 5, v67
	v_and_b32_e32 v40, 0xff, v69
	;; [unrolled: 2-line block ×4, first 2 shown]
	v_and_b32_e32 v46, 0xff, v18
	v_dual_fmac_f32 v90, v16, v23 :: v_dual_lshlrev_b32 v61, 3, v33
	v_lshlrev_b32_e32 v33, 3, v34
	v_and_b32_e32 v35, 0x7f8, v35
	v_lshlrev_b32_e32 v47, 3, v36
	v_lshrrev_b32_e32 v54, 5, v18
	v_and_b32_e32 v48, 0x7f8, v37
	v_lshlrev_b32_e32 v49, 3, v38
	v_and_b32_e32 v50, 0x7f8, v39
	v_lshlrev_b32_e32 v51, 3, v40
	;; [unrolled: 2-line block ×4, first 2 shown]
	v_lshlrev_b32_e32 v59, 3, v46
	s_clause 0x9
	global_load_b64 v[33:34], v33, s[8:9]
	global_load_b64 v[35:36], v35, s[8:9] offset:2048
	global_load_b64 v[37:38], v47, s[8:9]
	global_load_b64 v[39:40], v48, s[8:9] offset:2048
	;; [unrolled: 2-line block ×5, first 2 shown]
	v_lshrrev_b32_e32 v65, 13, v65
	v_lshrrev_b32_e32 v73, 13, v66
	;; [unrolled: 1-line block ×4, first 2 shown]
	v_and_b32_e32 v60, 0x7f8, v54
	v_and_b32_e32 v63, 0x7f8, v53
	s_clause 0x5
	global_load_b64 v[53:54], v57, s[8:9]
	global_load_b64 v[55:56], v58, s[8:9] offset:2048
	global_load_b64 v[57:58], v59, s[8:9]
	global_load_b64 v[59:60], v60, s[8:9] offset:2048
	;; [unrolled: 2-line block ×3, first 2 shown]
	v_and_b32_e32 v65, 0x7f8, v65
	v_and_b32_e32 v73, 0x7f8, v73
	v_lshrrev_b32_e32 v74, 13, v70
	v_lshrrev_b32_e32 v72, 13, v72
	v_and_b32_e32 v75, 0x7f8, v69
	v_and_b32_e32 v67, 0x7f8, v67
	s_clause 0x2
	global_load_b64 v[65:66], v65, s[8:9] offset:4096
	global_load_b64 v[67:68], v67, s[8:9] offset:4096
	;; [unrolled: 1-line block ×3, first 2 shown]
	v_and_b32_e32 v77, 0x7f8, v72
	global_load_b64 v[71:72], v75, s[8:9] offset:4096
	v_and_b32_e32 v73, 0x7f8, v74
	v_lshrrev_b32_e32 v18, 13, v18
	v_and_b32_e32 v79, 0x7f8, v76
	global_load_b64 v[73:74], v73, s[8:9] offset:4096
	v_and_b32_e32 v18, 0x7f8, v18
	s_clause 0x2
	global_load_b64 v[75:76], v77, s[8:9] offset:4096
	global_load_b64 v[77:78], v18, s[8:9] offset:4096
	;; [unrolled: 1-line block ×3, first 2 shown]
	v_and_b32_e32 v18, 0xffff, v0
	v_add_nc_u32_e32 v0, s6, v17
	s_delay_alu instid0(VALU_DEP_2) | instskip(NEXT) | instid1(VALU_DEP_1)
	v_add_nc_u32_e32 v81, v81, v18
	v_mad_co_u64_u32 v[17:18], null, s4, v81, v[0:1]
	v_add_nc_u32_e32 v82, 42, v81
	v_mul_f32_e32 v18, v4, v20
	v_add_nc_u32_e32 v84, 0x7e, v81
	v_add_nc_u32_e32 v85, 0xa8, v81
	;; [unrolled: 1-line block ×4, first 2 shown]
	v_fma_f32 v89, v3, v19, -v18
	v_mad_co_u64_u32 v[3:4], null, s4, v82, v[0:1]
	v_add_nc_u32_e32 v83, 0x54, v81
	v_dual_mul_f32 v4, v10, v26 :: v_dual_add_nc_u32 v81, 0x126, v81
	v_fma_f32 v82, v15, v23, -v13
	v_mad_co_u64_u32 v[15:16], null, s4, v84, v[0:1]
	s_delay_alu instid0(VALU_DEP_4) | instskip(NEXT) | instid1(VALU_DEP_4)
	v_mad_co_u64_u32 v[13:14], null, s4, v83, v[0:1]
	v_fma_f32 v25, v9, v25, -v4
	v_mad_co_u64_u32 v[9:10], null, s4, v85, v[0:1]
	v_mad_co_u64_u32 v[19:20], null, s4, v20, v[0:1]
	;; [unrolled: 1-line block ×4, first 2 shown]
	v_mov_b32_e32 v18, 0
	s_delay_alu instid0(VALU_DEP_1)
	v_mov_b32_e32 v4, v18
	v_mov_b32_e32 v14, v18
	;; [unrolled: 1-line block ×7, first 2 shown]
	v_lshlrev_b64_e32 v[17:18], 3, v[17:18]
	v_lshlrev_b64_e32 v[3:4], 3, v[3:4]
	;; [unrolled: 1-line block ×6, first 2 shown]
	v_add_co_u32 v17, vcc_lo, s2, v17
	s_wait_alu 0xfffd
	v_add_co_ci_u32_e32 v18, vcc_lo, s3, v18, vcc_lo
	v_add_co_u32 v3, vcc_lo, s2, v3
	s_wait_alu 0xfffd
	v_add_co_ci_u32_e32 v4, vcc_lo, s3, v4, vcc_lo
	;; [unrolled: 3-line block ×4, first 2 shown]
	v_lshlrev_b64_e32 v[21:22], 3, v[21:22]
	v_add_co_u32 v9, vcc_lo, s2, v9
	s_wait_alu 0xfffd
	v_add_co_ci_u32_e32 v10, vcc_lo, s3, v10, vcc_lo
	v_lshlrev_b64_e32 v[23:24], 3, v[23:24]
	v_add_co_u32 v19, vcc_lo, s2, v19
	s_wait_alu 0xfffd
	v_add_co_ci_u32_e32 v20, vcc_lo, s3, v20, vcc_lo
	v_add_co_u32 v21, vcc_lo, s2, v21
	s_wait_alu 0xfffd
	v_add_co_ci_u32_e32 v22, vcc_lo, s3, v22, vcc_lo
	;; [unrolled: 3-line block ×3, first 2 shown]
	s_wait_loadcnt 0x19
	v_mul_f32_e32 v0, v12, v28
	v_mul_f32_e32 v26, v11, v28
	s_wait_dscnt 0x0
	v_mul_f32_e32 v28, v5, v30
	s_delay_alu instid0(VALU_DEP_3) | instskip(SKIP_4) | instid1(VALU_DEP_3)
	v_fma_f32 v0, v11, v27, -v0
	s_wait_loadcnt 0x18
	v_dual_fmac_f32 v26, v12, v27 :: v_dual_mul_f32 v11, v7, v32
	v_dual_mul_f32 v27, v8, v32 :: v_dual_mul_f32 v12, v6, v30
	v_fmac_f32_e32 v28, v6, v29
	v_dual_sub_f32 v0, v89, v0 :: v_dual_fmac_f32 v11, v8, v31
	s_delay_alu instid0(VALU_DEP_3) | instskip(NEXT) | instid1(VALU_DEP_4)
	v_fma_f32 v7, v7, v31, -v27
	v_fma_f32 v5, v5, v29, -v12
	v_sub_f32_e32 v8, v2, v91
	s_delay_alu instid0(VALU_DEP_4) | instskip(SKIP_4) | instid1(VALU_DEP_4)
	v_fma_f32 v83, v89, 2.0, -v0
	v_dual_sub_f32 v6, v90, v11 :: v_dual_sub_f32 v11, v87, v26
	v_sub_f32_e32 v7, v82, v7
	v_sub_f32_e32 v5, v86, v5
	v_fma_f32 v2, v2, 2.0, -v8
	v_fma_f32 v84, v87, 2.0, -v11
	s_delay_alu instid0(VALU_DEP_4)
	v_fma_f32 v81, v82, 2.0, -v7
	v_dual_add_f32 v7, v11, v7 :: v_dual_sub_f32 v12, v1, v25
	v_sub_f32_e32 v25, v88, v28
	s_wait_loadcnt 0x14
	v_mul_f32_e32 v29, v37, v40
	v_mul_f32_e32 v26, v34, v36
	;; [unrolled: 1-line block ×4, first 2 shown]
	s_wait_loadcnt 0x12
	v_mul_f32_e32 v30, v42, v44
	v_fmac_f32_e32 v29, v38, v39
	s_wait_loadcnt 0xe
	v_mul_f32_e32 v40, v50, v52
	v_mul_f32_e32 v31, v41, v44
	v_fma_f32 v26, v33, v35, -v26
	v_dual_mul_f32 v44, v49, v52 :: v_dual_fmac_f32 v27, v34, v35
	s_wait_loadcnt 0xc
	v_mul_f32_e32 v33, v54, v56
	v_mul_f32_e32 v34, v53, v56
	s_wait_loadcnt 0xa
	v_mul_f32_e32 v35, v58, v60
	s_wait_loadcnt 0x8
	v_mul_f32_e32 v56, v61, v64
	v_fma_f32 v28, v37, v39, -v28
	v_fma_f32 v37, v49, v51, -v40
	v_mul_f32_e32 v52, v62, v64
	v_fma_f32 v64, v86, 2.0, -v5
	v_dual_add_f32 v5, v8, v5 :: v_dual_mul_f32 v32, v46, v48
	v_fma_f32 v82, v88, 2.0, -v25
	v_fma_f32 v35, v57, v59, -v35
	v_fma_f32 v30, v41, v43, -v30
	s_delay_alu instid0(VALU_DEP_4)
	v_dual_fmamk_f32 v39, v7, 0x3f3504f3, v5 :: v_dual_mul_f32 v36, v45, v48
	v_dual_sub_f32 v25, v12, v25 :: v_dual_mul_f32 v48, v57, v60
	v_fma_f32 v60, v90, 2.0, -v6
	v_fma_f32 v1, v1, 2.0, -v12
	v_dual_fmac_f32 v31, v42, v43 :: v_dual_sub_f32 v6, v0, v6
	v_fma_f32 v32, v45, v47, -v32
	s_delay_alu instid0(VALU_DEP_4)
	v_dual_fmac_f32 v36, v46, v47 :: v_dual_sub_f32 v45, v84, v60
	v_fma_f32 v33, v53, v55, -v33
	v_sub_f32_e32 v41, v2, v82
	s_wait_loadcnt 0x7
	v_mul_f32_e32 v47, v26, v66
	s_wait_loadcnt 0x4
	v_dual_fmac_f32 v44, v50, v51 :: v_dual_mul_f32 v53, v36, v72
	s_wait_loadcnt 0x3
	v_mul_f32_e32 v57, v37, v74
	v_fma_f32 v38, v61, v63, -v52
	v_fmac_f32_e32 v34, v54, v55
	v_dual_fmac_f32 v56, v63, v62 :: v_dual_fmac_f32 v47, v65, v27
	s_delay_alu instid0(VALU_DEP_4)
	v_dual_sub_f32 v42, v83, v81 :: v_dual_fmac_f32 v57, v73, v44
	v_sub_f32_e32 v43, v1, v64
	v_fma_f32 v46, v8, 2.0, -v5
	v_fma_f32 v8, v11, 2.0, -v7
	v_fma_f32 v11, v12, 2.0, -v25
	v_dual_mul_f32 v51, v31, v68 :: v_dual_fmamk_f32 v40, v6, 0x3f3504f3, v25
	v_fma_f32 v0, v0, 2.0, -v6
	s_wait_loadcnt 0x1
	v_dual_mul_f32 v61, v35, v78 :: v_dual_fmac_f32 v48, v58, v59
	v_fmac_f32_e32 v39, 0x3f3504f3, v6
	v_dual_mul_f32 v12, v27, v66 :: v_dual_mul_f32 v59, v33, v76
	s_wait_loadcnt 0x0
	v_mul_f32_e32 v63, v80, v38
	v_dual_fmac_f32 v61, v77, v48 :: v_dual_mul_f32 v50, v28, v70
	v_fma_f32 v2, v2, 2.0, -v41
	v_fma_f32 v6, v84, 2.0, -v45
	s_delay_alu instid0(VALU_DEP_4)
	v_fmac_f32_e32 v63, v79, v56
	v_dual_mul_f32 v49, v29, v70 :: v_dual_mul_f32 v52, v30, v68
	v_fmac_f32_e32 v59, v75, v34
	v_sub_f32_e32 v64, v43, v45
	v_fma_f32 v45, v1, 2.0, -v43
	v_fma_f32 v1, v83, 2.0, -v42
	v_fmac_f32_e32 v50, v69, v29
	v_fma_f32 v29, v67, v30, -v51
	v_sub_f32_e32 v30, v2, v6
	v_dual_fmac_f32 v40, 0xbf3504f3, v7 :: v_dual_add_f32 v7, v41, v42
	v_fma_f32 v42, v65, v26, -v12
	v_fmamk_f32 v66, v8, 0xbf3504f3, v46
	v_mul_f32_e32 v54, v32, v72
	v_dual_mul_f32 v55, v44, v74 :: v_dual_mul_f32 v58, v34, v76
	v_mul_f32_e32 v62, v80, v56
	s_delay_alu instid0(VALU_DEP_4)
	v_fmac_f32_e32 v66, 0x3f3504f3, v0
	v_fma_f32 v27, v69, v28, -v49
	v_fma_f32 v49, v71, v32, -v53
	v_fma_f32 v32, v5, 2.0, -v39
	v_mul_f32_e32 v5, v7, v50
	v_fma_f32 v46, v46, 2.0, -v66
	v_fmac_f32_e32 v52, v67, v31
	v_mul_f32_e32 v60, v48, v78
	v_fma_f32 v31, v79, v38, -v62
	v_fma_f32 v38, v43, 2.0, -v64
	v_fma_f32 v2, v2, 2.0, -v30
	v_fmamk_f32 v68, v0, 0xbf3504f3, v11
	v_fma_f32 v34, v77, v35, -v60
	v_dual_sub_f32 v35, v45, v1 :: v_dual_fmac_f32 v54, v71, v36
	v_fma_f32 v36, v73, v37, -v55
	v_fma_f32 v37, v41, 2.0, -v7
	v_mul_f32_e32 v0, v39, v47
	s_delay_alu instid0(VALU_DEP_4)
	v_fma_f32 v45, v45, 2.0, -v35
	v_mul_f32_e32 v43, v30, v54
	v_mul_f32_e32 v1, v40, v47
	v_dual_mul_f32 v47, v37, v59 :: v_dual_mul_f32 v6, v64, v50
	v_fma_f32 v25, v25, 2.0, -v40
	v_fma_f32 v5, v64, v27, -v5
	v_dual_mul_f32 v41, v66, v52 :: v_dual_mul_f32 v12, v35, v54
	s_delay_alu instid0(VALU_DEP_4)
	v_fmac_f32_e32 v6, v7, v27
	v_dual_mul_f32 v27, v2, v63 :: v_dual_fmac_f32 v68, 0xbf3504f3, v8
	v_mul_f32_e32 v26, v25, v57
	v_mul_f32_e32 v44, v32, v57
	v_fmac_f32_e32 v12, v30, v49
	v_fma_f32 v33, v75, v33, -v58
	v_mul_f32_e32 v8, v68, v52
	v_fma_f32 v11, v11, 2.0, -v68
	v_fmac_f32_e32 v26, v32, v36
	v_mul_f32_e32 v32, v45, v63
	v_fma_f32 v7, v68, v29, -v41
	v_fmac_f32_e32 v8, v66, v29
	v_mul_f32_e32 v30, v61, v11
	v_dual_mul_f32 v29, v61, v46 :: v_dual_mul_f32 v28, v38, v59
	v_fmac_f32_e32 v32, v2, v31
	v_fma_f32 v31, v45, v31, -v27
	s_delay_alu instid0(VALU_DEP_4) | instskip(NEXT) | instid1(VALU_DEP_4)
	v_fmac_f32_e32 v30, v34, v46
	v_fma_f32 v29, v34, v11, -v29
	v_fmac_f32_e32 v28, v37, v33
	v_fma_f32 v27, v38, v33, -v47
	v_fma_f32 v25, v25, v36, -v44
	v_fma_f32 v11, v35, v49, -v43
	v_fmac_f32_e32 v1, v39, v42
	v_fma_f32 v0, v40, v42, -v0
	s_clause 0x7
	global_store_b64 v[17:18], v[31:32], off
	global_store_b64 v[3:4], v[29:30], off
	;; [unrolled: 1-line block ×8, first 2 shown]
.LBB0_32:
	s_nop 0
	s_sendmsg sendmsg(MSG_DEALLOC_VGPRS)
	s_endpgm
	.section	.rodata,"a",@progbits
	.p2align	6, 0x0
	.amdhsa_kernel fft_rtc_fwd_len336_factors_6_7_8_wgs_336_tpt_56_sp_ip_CI_sbcc_twdbase8_3step_dirReg_intrinsicReadWrite
		.amdhsa_group_segment_fixed_size 0
		.amdhsa_private_segment_fixed_size 0
		.amdhsa_kernarg_size 96
		.amdhsa_user_sgpr_count 2
		.amdhsa_user_sgpr_dispatch_ptr 0
		.amdhsa_user_sgpr_queue_ptr 0
		.amdhsa_user_sgpr_kernarg_segment_ptr 1
		.amdhsa_user_sgpr_dispatch_id 0
		.amdhsa_user_sgpr_private_segment_size 0
		.amdhsa_wavefront_size32 1
		.amdhsa_uses_dynamic_stack 0
		.amdhsa_enable_private_segment 0
		.amdhsa_system_sgpr_workgroup_id_x 1
		.amdhsa_system_sgpr_workgroup_id_y 0
		.amdhsa_system_sgpr_workgroup_id_z 0
		.amdhsa_system_sgpr_workgroup_info 0
		.amdhsa_system_vgpr_workitem_id 0
		.amdhsa_next_free_vgpr 92
		.amdhsa_next_free_sgpr 50
		.amdhsa_reserve_vcc 1
		.amdhsa_float_round_mode_32 0
		.amdhsa_float_round_mode_16_64 0
		.amdhsa_float_denorm_mode_32 3
		.amdhsa_float_denorm_mode_16_64 3
		.amdhsa_fp16_overflow 0
		.amdhsa_workgroup_processor_mode 1
		.amdhsa_memory_ordered 1
		.amdhsa_forward_progress 0
		.amdhsa_round_robin_scheduling 0
		.amdhsa_exception_fp_ieee_invalid_op 0
		.amdhsa_exception_fp_denorm_src 0
		.amdhsa_exception_fp_ieee_div_zero 0
		.amdhsa_exception_fp_ieee_overflow 0
		.amdhsa_exception_fp_ieee_underflow 0
		.amdhsa_exception_fp_ieee_inexact 0
		.amdhsa_exception_int_div_zero 0
	.end_amdhsa_kernel
	.text
.Lfunc_end0:
	.size	fft_rtc_fwd_len336_factors_6_7_8_wgs_336_tpt_56_sp_ip_CI_sbcc_twdbase8_3step_dirReg_intrinsicReadWrite, .Lfunc_end0-fft_rtc_fwd_len336_factors_6_7_8_wgs_336_tpt_56_sp_ip_CI_sbcc_twdbase8_3step_dirReg_intrinsicReadWrite
                                        ; -- End function
	.section	.AMDGPU.csdata,"",@progbits
; Kernel info:
; codeLenInByte = 6188
; NumSgprs: 52
; NumVgprs: 92
; ScratchSize: 0
; MemoryBound: 0
; FloatMode: 240
; IeeeMode: 1
; LDSByteSize: 0 bytes/workgroup (compile time only)
; SGPRBlocks: 6
; VGPRBlocks: 11
; NumSGPRsForWavesPerEU: 52
; NumVGPRsForWavesPerEU: 92
; Occupancy: 14
; WaveLimiterHint : 1
; COMPUTE_PGM_RSRC2:SCRATCH_EN: 0
; COMPUTE_PGM_RSRC2:USER_SGPR: 2
; COMPUTE_PGM_RSRC2:TRAP_HANDLER: 0
; COMPUTE_PGM_RSRC2:TGID_X_EN: 1
; COMPUTE_PGM_RSRC2:TGID_Y_EN: 0
; COMPUTE_PGM_RSRC2:TGID_Z_EN: 0
; COMPUTE_PGM_RSRC2:TIDIG_COMP_CNT: 0
	.text
	.p2alignl 7, 3214868480
	.fill 96, 4, 3214868480
	.type	__hip_cuid_811a18cfd750ab5d,@object ; @__hip_cuid_811a18cfd750ab5d
	.section	.bss,"aw",@nobits
	.globl	__hip_cuid_811a18cfd750ab5d
__hip_cuid_811a18cfd750ab5d:
	.byte	0                               ; 0x0
	.size	__hip_cuid_811a18cfd750ab5d, 1

	.ident	"AMD clang version 19.0.0git (https://github.com/RadeonOpenCompute/llvm-project roc-6.4.0 25133 c7fe45cf4b819c5991fe208aaa96edf142730f1d)"
	.section	".note.GNU-stack","",@progbits
	.addrsig
	.addrsig_sym __hip_cuid_811a18cfd750ab5d
	.amdgpu_metadata
---
amdhsa.kernels:
  - .args:
      - .actual_access:  read_only
        .address_space:  global
        .offset:         0
        .size:           8
        .value_kind:     global_buffer
      - .address_space:  global
        .offset:         8
        .size:           8
        .value_kind:     global_buffer
      - .offset:         16
        .size:           8
        .value_kind:     by_value
      - .actual_access:  read_only
        .address_space:  global
        .offset:         24
        .size:           8
        .value_kind:     global_buffer
      - .actual_access:  read_only
        .address_space:  global
        .offset:         32
        .size:           8
        .value_kind:     global_buffer
      - .offset:         40
        .size:           8
        .value_kind:     by_value
      - .actual_access:  read_only
        .address_space:  global
        .offset:         48
        .size:           8
        .value_kind:     global_buffer
      - .actual_access:  read_only
        .address_space:  global
        .offset:         56
        .size:           8
        .value_kind:     global_buffer
      - .offset:         64
        .size:           4
        .value_kind:     by_value
      - .actual_access:  read_only
        .address_space:  global
        .offset:         72
        .size:           8
        .value_kind:     global_buffer
      - .actual_access:  read_only
        .address_space:  global
        .offset:         80
        .size:           8
        .value_kind:     global_buffer
      - .address_space:  global
        .offset:         88
        .size:           8
        .value_kind:     global_buffer
    .group_segment_fixed_size: 0
    .kernarg_segment_align: 8
    .kernarg_segment_size: 96
    .language:       OpenCL C
    .language_version:
      - 2
      - 0
    .max_flat_workgroup_size: 336
    .name:           fft_rtc_fwd_len336_factors_6_7_8_wgs_336_tpt_56_sp_ip_CI_sbcc_twdbase8_3step_dirReg_intrinsicReadWrite
    .private_segment_fixed_size: 0
    .sgpr_count:     52
    .sgpr_spill_count: 0
    .symbol:         fft_rtc_fwd_len336_factors_6_7_8_wgs_336_tpt_56_sp_ip_CI_sbcc_twdbase8_3step_dirReg_intrinsicReadWrite.kd
    .uniform_work_group_size: 1
    .uses_dynamic_stack: false
    .vgpr_count:     92
    .vgpr_spill_count: 0
    .wavefront_size: 32
    .workgroup_processor_mode: 1
amdhsa.target:   amdgcn-amd-amdhsa--gfx1201
amdhsa.version:
  - 1
  - 2
...

	.end_amdgpu_metadata
